;; amdgpu-corpus repo=ROCm/rocFFT kind=compiled arch=gfx1030 opt=O3
	.text
	.amdgcn_target "amdgcn-amd-amdhsa--gfx1030"
	.amdhsa_code_object_version 6
	.protected	bluestein_single_fwd_len1323_dim1_dp_op_CI_CI ; -- Begin function bluestein_single_fwd_len1323_dim1_dp_op_CI_CI
	.globl	bluestein_single_fwd_len1323_dim1_dp_op_CI_CI
	.p2align	8
	.type	bluestein_single_fwd_len1323_dim1_dp_op_CI_CI,@function
bluestein_single_fwd_len1323_dim1_dp_op_CI_CI: ; @bluestein_single_fwd_len1323_dim1_dp_op_CI_CI
; %bb.0:
	s_load_dwordx4 s[8:11], s[4:5], 0x28
	v_mul_u32_u24_e32 v1, 0x15b, v0
	v_mov_b32_e32 v159, 0
	s_mov_b32 s0, exec_lo
	v_lshrrev_b32_e32 v1, 16, v1
	v_add_nc_u32_e32 v158, s6, v1
	s_waitcnt lgkmcnt(0)
	v_cmpx_gt_u64_e64 s[8:9], v[158:159]
	s_cbranch_execz .LBB0_31
; %bb.1:
	s_clause 0x1
	s_load_dwordx4 s[0:3], s[4:5], 0x18
	s_load_dwordx2 s[6:7], s[4:5], 0x0
	v_mul_lo_u16 v1, 0xbd, v1
	v_sub_nc_u16 v74, v0, v1
	v_and_b32_e32 v162, 0xffff, v74
	v_lshlrev_b32_e32 v159, 4, v162
	s_waitcnt lgkmcnt(0)
	s_load_dwordx4 s[12:15], s[0:1], 0x0
	v_add_co_u32 v160, s0, s6, v159
	v_add_co_ci_u32_e64 v161, null, s7, 0, s0
	global_load_dwordx4 v[0:3], v159, s[6:7]
	v_add_co_u32 v4, vcc_lo, 0x1800, v160
	v_add_co_ci_u32_e32 v5, vcc_lo, 0, v161, vcc_lo
	v_add_co_u32 v156, vcc_lo, 0x3000, v160
	v_add_co_ci_u32_e32 v157, vcc_lo, 0, v161, vcc_lo
	v_add_co_u32 v6, vcc_lo, 0x800, v160
	v_add_co_ci_u32_e32 v7, vcc_lo, 0, v161, vcc_lo
	v_add_co_u32 v20, vcc_lo, 0x2000, v160
	s_waitcnt lgkmcnt(0)
	v_mad_u64_u32 v[16:17], null, s14, v158, 0
	v_mad_u64_u32 v[18:19], null, s12, v162, 0
	v_add_co_ci_u32_e32 v21, vcc_lo, 0, v161, vcc_lo
	v_add_co_u32 v46, vcc_lo, 0x4000, v160
	v_mov_b32_e32 v8, v17
	v_add_co_ci_u32_e32 v47, vcc_lo, 0, v161, vcc_lo
	v_mov_b32_e32 v12, v19
	s_mul_i32 s1, s13, 0x1b9
	v_mad_u64_u32 v[22:23], null, s15, v158, v[8:9]
	s_mul_hi_u32 s7, s12, 0x1b9
	v_mad_u64_u32 v[23:24], null, s13, v162, v[12:13]
	s_mul_i32 s0, s12, 0x1b9
	s_mul_hi_u32 s9, s12, 0xfffffd4b
	s_add_i32 s1, s7, s1
	v_mov_b32_e32 v17, v22
	s_mul_i32 s8, s13, 0xfffffd4b
	s_mul_i32 s6, s12, 0xfffffd4b
	v_mov_b32_e32 v19, v23
	s_sub_i32 s7, s9, s12
	v_lshlrev_b64 v[16:17], 4, v[16:17]
	s_lshl_b64 s[12:13], s[0:1], 4
	s_add_i32 s7, s7, s8
	v_lshlrev_b64 v[18:19], 4, v[18:19]
	s_lshl_b64 s[0:1], s[6:7], 4
	global_load_dwordx4 v[8:11], v[4:5], off offset:912
	v_add_co_u32 v16, vcc_lo, s10, v16
	v_add_co_ci_u32_e32 v17, vcc_lo, s11, v17, vcc_lo
	s_clause 0x1
	global_load_dwordx4 v[12:15], v[156:157], off offset:1824
	global_load_dwordx4 v[4:7], v[6:7], off offset:976
	v_add_co_u32 v16, vcc_lo, v16, v18
	v_add_co_ci_u32_e32 v17, vcc_lo, v17, v19, vcc_lo
	v_add_co_u32 v18, vcc_lo, v16, s12
	v_add_co_ci_u32_e32 v19, vcc_lo, s13, v17, vcc_lo
	s_clause 0x1
	global_load_dwordx4 v[26:29], v[16:17], off
	global_load_dwordx4 v[30:33], v[18:19], off
	v_add_co_u32 v22, vcc_lo, v18, s12
	v_add_co_ci_u32_e32 v23, vcc_lo, s13, v19, vcc_lo
	v_add_co_u32 v38, vcc_lo, v22, s0
	v_add_co_ci_u32_e32 v39, vcc_lo, s1, v23, vcc_lo
	global_load_dwordx4 v[34:37], v[22:23], off
	v_add_co_u32 v16, vcc_lo, v38, s12
	v_add_co_ci_u32_e32 v17, vcc_lo, s13, v39, vcc_lo
	v_add_co_u32 v24, vcc_lo, v16, s12
	v_add_co_ci_u32_e32 v25, vcc_lo, s13, v17, vcc_lo
	s_clause 0x1
	global_load_dwordx4 v[38:41], v[38:39], off
	global_load_dwordx4 v[42:45], v[16:17], off
	s_clause 0x1
	global_load_dwordx4 v[16:19], v[20:21], off offset:1888
	global_load_dwordx4 v[20:23], v[46:47], off offset:752
	global_load_dwordx4 v[46:49], v[24:25], off
	s_load_dwordx2 s[6:7], s[4:5], 0x38
	s_load_dwordx4 s[8:11], s[2:3], 0x0
	v_cmp_gt_u16_e32 vcc_lo, 63, v74
	s_waitcnt vmcnt(7)
	v_mul_f64 v[50:51], v[28:29], v[2:3]
	v_mul_f64 v[52:53], v[26:27], v[2:3]
	s_waitcnt vmcnt(6)
	v_mul_f64 v[54:55], v[32:33], v[10:11]
	v_mul_f64 v[56:57], v[30:31], v[10:11]
	;; [unrolled: 3-line block ×6, first 2 shown]
	v_fma_f64 v[26:27], v[26:27], v[0:1], v[50:51]
	v_fma_f64 v[28:29], v[28:29], v[0:1], -v[52:53]
	v_fma_f64 v[30:31], v[30:31], v[8:9], v[54:55]
	v_fma_f64 v[32:33], v[32:33], v[8:9], -v[56:57]
	ds_write_b128 v159, v[26:29]
	ds_write_b128 v159, v[30:33] offset:7056
	v_fma_f64 v[34:35], v[34:35], v[12:13], v[58:59]
	v_fma_f64 v[36:37], v[36:37], v[12:13], -v[60:61]
	v_fma_f64 v[38:39], v[38:39], v[4:5], v[62:63]
	v_fma_f64 v[40:41], v[40:41], v[4:5], -v[64:65]
	;; [unrolled: 2-line block ×4, first 2 shown]
	ds_write_b128 v159, v[34:37] offset:14112
	ds_write_b128 v159, v[38:41] offset:3024
	;; [unrolled: 1-line block ×4, first 2 shown]
	s_and_saveexec_b32 s2, vcc_lo
	s_cbranch_execz .LBB0_3
; %bb.2:
	v_add_co_u32 v28, s0, v24, s0
	v_add_co_ci_u32_e64 v29, s0, s1, v25, s0
	v_add_co_u32 v30, s0, 0x1000, v160
	v_add_co_ci_u32_e64 v31, s0, 0, v161, s0
	;; [unrolled: 2-line block ×4, first 2 shown]
	v_add_co_u32 v44, s0, v32, s12
	global_load_dwordx4 v[24:27], v[28:29], off
	v_add_co_ci_u32_e64 v45, s0, s13, v33, s0
	global_load_dwordx4 v[28:31], v[30:31], off offset:1952
	global_load_dwordx4 v[32:35], v[32:33], off
	s_clause 0x1
	global_load_dwordx4 v[36:39], v[156:157], off offset:816
	global_load_dwordx4 v[40:43], v[40:41], off offset:1728
	global_load_dwordx4 v[44:47], v[44:45], off
	s_waitcnt vmcnt(4)
	v_mul_f64 v[48:49], v[26:27], v[30:31]
	v_mul_f64 v[30:31], v[24:25], v[30:31]
	s_waitcnt vmcnt(2)
	v_mul_f64 v[50:51], v[34:35], v[38:39]
	v_mul_f64 v[38:39], v[32:33], v[38:39]
	;; [unrolled: 3-line block ×3, first 2 shown]
	v_fma_f64 v[24:25], v[24:25], v[28:29], v[48:49]
	v_fma_f64 v[26:27], v[26:27], v[28:29], -v[30:31]
	v_fma_f64 v[28:29], v[32:33], v[36:37], v[50:51]
	v_fma_f64 v[30:31], v[34:35], v[36:37], -v[38:39]
	;; [unrolled: 2-line block ×3, first 2 shown]
	ds_write_b128 v159, v[24:27] offset:6048
	ds_write_b128 v159, v[28:31] offset:13104
	;; [unrolled: 1-line block ×3, first 2 shown]
.LBB0_3:
	s_or_b32 exec_lo, exec_lo, s2
	s_waitcnt lgkmcnt(0)
	s_barrier
	buffer_gl0_inv
	ds_read_b128 v[36:39], v159
	ds_read_b128 v[32:35], v159 offset:3024
	ds_read_b128 v[48:51], v159 offset:7056
	;; [unrolled: 1-line block ×5, first 2 shown]
                                        ; implicit-def: $vgpr40_vgpr41
                                        ; implicit-def: $vgpr52_vgpr53
                                        ; implicit-def: $vgpr56_vgpr57
	s_and_saveexec_b32 s0, vcc_lo
	s_cbranch_execz .LBB0_5
; %bb.4:
	ds_read_b128 v[40:43], v159 offset:6048
	ds_read_b128 v[52:55], v159 offset:13104
	;; [unrolled: 1-line block ×3, first 2 shown]
.LBB0_5:
	s_or_b32 exec_lo, exec_lo, s0
	s_waitcnt lgkmcnt(1)
	v_add_f64 v[60:61], v[48:49], v[28:29]
	v_add_f64 v[62:63], v[50:51], v[30:31]
	s_waitcnt lgkmcnt(0)
	v_add_f64 v[64:65], v[44:45], v[24:25]
	v_add_f64 v[66:67], v[46:47], v[26:27]
	;; [unrolled: 1-line block ×5, first 2 shown]
	v_add_f64 v[74:75], v[50:51], -v[30:31]
	v_add_f64 v[50:51], v[38:39], v[50:51]
	v_add_f64 v[76:77], v[32:33], v[44:45]
	;; [unrolled: 1-line block ×5, first 2 shown]
	v_add_f64 v[48:49], v[48:49], -v[28:29]
	v_add_f64 v[46:47], v[46:47], -v[26:27]
	v_add_f64 v[44:45], v[44:45], -v[24:25]
	s_mov_b32 s2, 0xe8584caa
	s_load_dwordx2 s[0:1], s[4:5], 0x8
	s_mov_b32 s3, 0x3febb67a
	s_mov_b32 s5, 0xbfebb67a
	;; [unrolled: 1-line block ×3, first 2 shown]
	v_add_co_u32 v110, null, 0x17a, v162
	v_fma_f64 v[36:37], v[60:61], -0.5, v[36:37]
	v_fma_f64 v[38:39], v[62:63], -0.5, v[38:39]
	;; [unrolled: 1-line block ×4, first 2 shown]
	v_add_f64 v[64:65], v[54:55], -v[58:59]
	v_fma_f64 v[66:67], v[68:69], -0.5, v[40:41]
	v_add_f64 v[68:69], v[52:53], -v[56:57]
	v_fma_f64 v[70:71], v[70:71], -0.5, v[42:43]
	v_add_f64 v[28:29], v[72:73], v[28:29]
	v_add_f64 v[30:31], v[50:51], v[30:31]
	;; [unrolled: 1-line block ×6, first 2 shown]
	v_mov_b32_e32 v57, 4
	v_mul_u32_u24_e32 v164, 3, v110
	s_waitcnt lgkmcnt(0)
	s_barrier
	buffer_gl0_inv
	v_fma_f64 v[32:33], v[74:75], s[2:3], v[36:37]
	v_fma_f64 v[34:35], v[48:49], s[4:5], v[38:39]
	;; [unrolled: 1-line block ×12, first 2 shown]
	v_add_co_u32 v109, s2, 0xbd, v162
	v_add_co_ci_u32_e64 v56, null, 0, 0, s2
	v_mul_lo_u16 v56, v162, 3
	v_mul_u32_u24_e32 v58, 3, v109
	v_lshlrev_b32_sdwa v165, v57, v56 dst_sel:DWORD dst_unused:UNUSED_PAD src0_sel:DWORD src1_sel:WORD_0
	v_lshlrev_b32_e32 v163, 4, v58
	ds_write_b128 v165, v[28:31]
	ds_write_b128 v165, v[32:35] offset:16
	ds_write_b128 v165, v[36:39] offset:32
	ds_write_b128 v163, v[24:27]
	ds_write_b128 v163, v[48:51] offset:16
	ds_write_b128 v163, v[52:55] offset:32
	s_and_saveexec_b32 s2, vcc_lo
	s_cbranch_execz .LBB0_7
; %bb.6:
	v_lshlrev_b32_e32 v24, 4, v164
	ds_write_b128 v24, v[40:43]
	ds_write_b128 v24, v[44:47] offset:16
	ds_write_b128 v24, v[64:67] offset:32
.LBB0_7:
	s_or_b32 exec_lo, exec_lo, s2
	s_waitcnt lgkmcnt(0)
	s_barrier
	buffer_gl0_inv
	ds_read_b128 v[60:63], v159
	ds_read_b128 v[56:59], v159 offset:3024
	ds_read_b128 v[76:79], v159 offset:7056
	;; [unrolled: 1-line block ×5, first 2 shown]
	s_and_saveexec_b32 s2, vcc_lo
	s_cbranch_execz .LBB0_9
; %bb.8:
	ds_read_b128 v[40:43], v159 offset:6048
	ds_read_b128 v[44:47], v159 offset:13104
	ds_read_b128 v[64:67], v159 offset:20160
.LBB0_9:
	s_or_b32 exec_lo, exec_lo, s2
	v_and_b32_e32 v108, 0xff, v162
	v_mov_b32_e32 v24, 0xaaab
	v_mov_b32_e32 v84, 4
	s_mov_b32 s2, 0xe8584caa
	s_mov_b32 s3, 0x3febb67a
	v_mul_lo_u16 v25, 0xab, v108
	v_mul_u32_u24_sdwa v26, v109, v24 dst_sel:DWORD dst_unused:UNUSED_PAD src0_sel:WORD_0 src1_sel:DWORD
	v_mul_u32_u24_sdwa v24, v110, v24 dst_sel:DWORD dst_unused:UNUSED_PAD src0_sel:WORD_0 src1_sel:DWORD
	s_mov_b32 s4, s2
	v_lshrrev_b16 v107, 9, v25
	v_lshrrev_b32_e32 v115, 17, v26
	v_lshrrev_b32_e32 v116, 17, v24
	v_mul_lo_u16 v25, v107, 3
	v_mul_lo_u16 v24, v115, 3
	v_mul_lo_u16 v26, v116, 3
	v_sub_nc_u16 v25, v162, v25
	v_sub_nc_u16 v117, v109, v24
	;; [unrolled: 1-line block ×3, first 2 shown]
	v_and_b32_e32 v118, 0xff, v25
	v_lshlrev_b16 v24, 1, v117
	v_lshlrev_b16 v26, 1, v119
	v_mad_u16 v166, v116, 9, v119
	v_lshlrev_b32_e32 v25, 5, v118
	v_lshlrev_b32_sdwa v24, v84, v24 dst_sel:DWORD dst_unused:UNUSED_PAD src0_sel:DWORD src1_sel:WORD_0
	v_lshlrev_b32_sdwa v48, v84, v26 dst_sel:DWORD dst_unused:UNUSED_PAD src0_sel:DWORD src1_sel:WORD_0
	s_clause 0x5
	global_load_dwordx4 v[36:39], v25, s[0:1]
	global_load_dwordx4 v[32:35], v25, s[0:1] offset:16
	global_load_dwordx4 v[28:31], v24, s[0:1]
	global_load_dwordx4 v[24:27], v24, s[0:1] offset:16
	;; [unrolled: 2-line block ×3, first 2 shown]
	s_waitcnt vmcnt(0) lgkmcnt(0)
	s_barrier
	buffer_gl0_inv
	v_mul_f64 v[93:94], v[70:71], v[30:31]
	v_mul_f64 v[85:86], v[78:79], v[38:39]
	v_mul_f64 v[87:88], v[82:83], v[34:35]
	v_mul_f64 v[89:90], v[76:77], v[38:39]
	v_mul_f64 v[91:92], v[80:81], v[34:35]
	v_mul_f64 v[95:96], v[74:75], v[26:27]
	v_mul_f64 v[97:98], v[68:69], v[30:31]
	v_mul_f64 v[99:100], v[72:73], v[26:27]
	v_mul_f64 v[101:102], v[46:47], v[54:55]
	v_mul_f64 v[103:104], v[66:67], v[50:51]
	v_mul_f64 v[105:106], v[44:45], v[54:55]
	v_mul_f64 v[111:112], v[64:65], v[50:51]
	v_fma_f64 v[68:69], v[68:69], v[28:29], -v[93:94]
	v_fma_f64 v[76:77], v[76:77], v[36:37], -v[85:86]
	;; [unrolled: 1-line block ×3, first 2 shown]
	v_fma_f64 v[78:79], v[78:79], v[36:37], v[89:90]
	v_fma_f64 v[82:83], v[82:83], v[32:33], v[91:92]
	v_fma_f64 v[72:73], v[72:73], v[24:25], -v[95:96]
	v_fma_f64 v[70:71], v[70:71], v[28:29], v[97:98]
	v_fma_f64 v[74:75], v[74:75], v[24:25], v[99:100]
	v_fma_f64 v[44:45], v[44:45], v[52:53], -v[101:102]
	v_fma_f64 v[64:65], v[64:65], v[48:49], -v[103:104]
	v_fma_f64 v[46:47], v[46:47], v[52:53], v[105:106]
	v_fma_f64 v[66:67], v[66:67], v[48:49], v[111:112]
	v_add_f64 v[101:102], v[56:57], v[68:69]
	v_add_f64 v[97:98], v[60:61], v[76:77]
	;; [unrolled: 1-line block ×3, first 2 shown]
	v_add_f64 v[76:77], v[76:77], -v[80:81]
	v_add_f64 v[87:88], v[78:79], v[82:83]
	v_add_f64 v[89:90], v[68:69], v[72:73]
	v_add_f64 v[99:100], v[78:79], -v[82:83]
	v_add_f64 v[91:92], v[70:71], v[74:75]
	v_add_f64 v[78:79], v[62:63], v[78:79]
	v_add_f64 v[93:94], v[44:45], v[64:65]
	v_add_f64 v[103:104], v[58:59], v[70:71]
	v_add_f64 v[95:96], v[46:47], v[66:67]
	v_add_f64 v[105:106], v[40:41], v[44:45]
	v_add_f64 v[111:112], v[42:43], v[46:47]
	v_add_f64 v[70:71], v[70:71], -v[74:75]
	v_add_f64 v[113:114], v[44:45], -v[64:65]
	v_add_f64 v[44:45], v[101:102], v[72:73]
	v_fma_f64 v[60:61], v[85:86], -0.5, v[60:61]
	v_fma_f64 v[62:63], v[87:88], -0.5, v[62:63]
	;; [unrolled: 1-line block ×3, first 2 shown]
	v_add_f64 v[87:88], v[68:69], -v[72:73]
	v_fma_f64 v[89:90], v[91:92], -0.5, v[58:59]
	v_add_f64 v[91:92], v[46:47], -v[66:67]
	v_fma_f64 v[93:94], v[93:94], -0.5, v[40:41]
	v_add_f64 v[40:41], v[97:98], v[80:81]
	v_fma_f64 v[95:96], v[95:96], -0.5, v[42:43]
	v_add_f64 v[42:43], v[78:79], v[82:83]
	v_add_f64 v[46:47], v[103:104], v[74:75]
	;; [unrolled: 1-line block ×4, first 2 shown]
	v_mov_b32_e32 v80, 9
	v_mad_u16 v81, v115, 9, v117
	v_mul_u32_u24_sdwa v80, v107, v80 dst_sel:DWORD dst_unused:UNUSED_PAD src0_sel:WORD_0 src1_sel:DWORD
	v_lshlrev_b32_sdwa v167, v84, v81 dst_sel:DWORD dst_unused:UNUSED_PAD src0_sel:DWORD src1_sel:WORD_0
	v_fma_f64 v[56:57], v[99:100], s[2:3], v[60:61]
	v_fma_f64 v[60:61], v[99:100], s[4:5], v[60:61]
	;; [unrolled: 1-line block ×12, first 2 shown]
	v_add_lshl_u32 v168, v80, v118, 4
	ds_write_b128 v168, v[40:43]
	ds_write_b128 v168, v[56:59] offset:48
	ds_write_b128 v168, v[60:63] offset:96
	ds_write_b128 v167, v[44:47]
	ds_write_b128 v167, v[64:67] offset:48
	ds_write_b128 v167, v[68:71] offset:96
	s_and_saveexec_b32 s2, vcc_lo
	s_cbranch_execz .LBB0_11
; %bb.10:
	v_lshlrev_b32_sdwa v40, v84, v166 dst_sel:DWORD dst_unused:UNUSED_PAD src0_sel:DWORD src1_sel:WORD_0
	ds_write_b128 v40, v[72:75]
	ds_write_b128 v40, v[76:79] offset:48
	ds_write_b128 v40, v[88:91] offset:96
.LBB0_11:
	s_or_b32 exec_lo, exec_lo, s2
	s_waitcnt lgkmcnt(0)
	s_barrier
	buffer_gl0_inv
	ds_read_b128 v[84:87], v159
	ds_read_b128 v[80:83], v159 offset:3024
	ds_read_b128 v[100:103], v159 offset:7056
	;; [unrolled: 1-line block ×5, first 2 shown]
	s_and_saveexec_b32 s2, vcc_lo
	s_cbranch_execz .LBB0_13
; %bb.12:
	ds_read_b128 v[72:75], v159 offset:6048
	ds_read_b128 v[76:79], v159 offset:13104
	;; [unrolled: 1-line block ×3, first 2 shown]
.LBB0_13:
	s_or_b32 exec_lo, exec_lo, s2
	v_mov_b32_e32 v40, 0xe38f
	v_mul_lo_u16 v41, v108, 57
	v_mul_u32_u24_sdwa v42, v109, v40 dst_sel:DWORD dst_unused:UNUSED_PAD src0_sel:WORD_0 src1_sel:DWORD
	v_mul_u32_u24_sdwa v40, v110, v40 dst_sel:DWORD dst_unused:UNUSED_PAD src0_sel:WORD_0 src1_sel:DWORD
	v_lshrrev_b16 v139, 9, v41
	v_lshrrev_b32_e32 v140, 19, v42
	v_lshrrev_b32_e32 v141, 19, v40
	v_mul_lo_u16 v41, v139, 9
	v_mul_lo_u16 v40, v140, 9
	;; [unrolled: 1-line block ×3, first 2 shown]
	v_sub_nc_u16 v41, v162, v41
	v_sub_nc_u16 v142, v109, v40
	;; [unrolled: 1-line block ×3, first 2 shown]
	v_and_b32_e32 v143, 0xff, v41
	v_lshlrev_b16 v40, 5, v142
	v_lshlrev_b16 v42, 5, v144
	v_lshlrev_b32_e32 v41, 5, v143
	v_mad_u16 v169, v141, 27, v144
	s_clause 0x1
	global_load_dwordx4 v[56:59], v41, s[0:1] offset:112
	global_load_dwordx4 v[60:63], v41, s[0:1] offset:96
	v_and_b32_e32 v40, 0xffff, v40
	v_and_b32_e32 v42, 0xffff, v42
	v_add_co_u32 v40, s2, s0, v40
	v_add_co_ci_u32_e64 v41, null, s1, 0, s2
	v_add_co_u32 v42, s2, s0, v42
	v_add_co_ci_u32_e64 v43, null, s1, 0, s2
	s_clause 0x3
	global_load_dwordx4 v[68:71], v[40:41], off offset:96
	global_load_dwordx4 v[64:67], v[40:41], off offset:112
	;; [unrolled: 1-line block ×4, first 2 shown]
	s_mov_b32 s2, 0xe8584caa
	s_mov_b32 s3, 0x3febb67a
	;; [unrolled: 1-line block ×3, first 2 shown]
	s_waitcnt vmcnt(0) lgkmcnt(0)
	s_barrier
	buffer_gl0_inv
	v_mul_f64 v[111:112], v[106:107], v[58:59]
	v_mul_f64 v[109:110], v[102:103], v[62:63]
	;; [unrolled: 1-line block ×12, first 2 shown]
	v_fma_f64 v[104:105], v[104:105], v[56:57], -v[111:112]
	v_fma_f64 v[100:101], v[100:101], v[60:61], -v[109:110]
	v_fma_f64 v[102:103], v[102:103], v[60:61], v[113:114]
	v_fma_f64 v[106:107], v[106:107], v[56:57], v[115:116]
	v_fma_f64 v[109:110], v[92:93], v[68:69], -v[117:118]
	v_fma_f64 v[96:97], v[96:97], v[64:65], -v[119:120]
	;; [unrolled: 1-line block ×4, first 2 shown]
	v_fma_f64 v[88:89], v[78:79], v[44:45], v[129:130]
	v_fma_f64 v[78:79], v[90:91], v[40:41], v[131:132]
	;; [unrolled: 1-line block ×4, first 2 shown]
	v_add_f64 v[90:91], v[100:101], v[104:105]
	v_add_f64 v[121:122], v[84:85], v[100:101]
	;; [unrolled: 1-line block ×3, first 2 shown]
	v_add_f64 v[123:124], v[102:103], -v[106:107]
	v_add_f64 v[102:103], v[86:87], v[102:103]
	v_add_f64 v[129:130], v[100:101], -v[104:105]
	v_add_f64 v[125:126], v[80:81], v[109:110]
	v_add_f64 v[113:114], v[109:110], v[96:97]
	v_add_f64 v[131:132], v[109:110], -v[96:97]
	v_add_f64 v[117:118], v[92:93], v[76:77]
	v_add_f64 v[135:136], v[92:93], -v[76:77]
	v_add_f64 v[119:120], v[88:89], v[78:79]
	v_add_f64 v[127:128], v[82:83], v[94:95]
	;; [unrolled: 1-line block ×3, first 2 shown]
	v_add_f64 v[133:134], v[88:89], -v[78:79]
	v_fma_f64 v[90:91], v[90:91], -0.5, v[84:85]
	v_fma_f64 v[85:86], v[111:112], -0.5, v[86:87]
	v_add_f64 v[111:112], v[94:95], -v[98:99]
	v_add_f64 v[94:95], v[125:126], v[96:97]
	v_fma_f64 v[113:114], v[113:114], -0.5, v[80:81]
	v_mov_b32_e32 v80, 27
	v_fma_f64 v[117:118], v[117:118], -0.5, v[72:73]
	v_fma_f64 v[137:138], v[119:120], -0.5, v[74:75]
	v_add_f64 v[96:97], v[127:128], v[98:99]
	v_fma_f64 v[115:116], v[115:116], -0.5, v[82:83]
	v_add_f64 v[81:82], v[121:122], v[104:105]
	v_add_f64 v[83:84], v[102:103], v[106:107]
	v_fma_f64 v[98:99], v[123:124], s[2:3], v[90:91]
	v_fma_f64 v[102:103], v[123:124], s[4:5], v[90:91]
	;; [unrolled: 1-line block ×4, first 2 shown]
	v_mul_u32_u24_sdwa v85, v139, v80 dst_sel:DWORD dst_unused:UNUSED_PAD src0_sel:WORD_0 src1_sel:DWORD
	v_mov_b32_e32 v80, 4
	v_mad_u16 v86, v140, 27, v142
	v_add_lshl_u32 v170, v85, v143, 4
	v_lshlrev_b32_sdwa v171, v80, v86 dst_sel:DWORD dst_unused:UNUSED_PAD src0_sel:DWORD src1_sel:WORD_0
	v_fma_f64 v[109:110], v[111:112], s[2:3], v[113:114]
	v_fma_f64 v[113:114], v[111:112], s[4:5], v[113:114]
	;; [unrolled: 1-line block ×8, first 2 shown]
	ds_write_b128 v170, v[81:84]
	ds_write_b128 v170, v[98:101] offset:144
	ds_write_b128 v170, v[102:105] offset:288
	ds_write_b128 v171, v[94:97]
	ds_write_b128 v171, v[109:112] offset:144
	ds_write_b128 v171, v[113:116] offset:288
	s_and_saveexec_b32 s2, vcc_lo
	s_cbranch_execz .LBB0_15
; %bb.14:
	v_add_f64 v[74:75], v[74:75], v[88:89]
	v_add_f64 v[72:73], v[72:73], v[92:93]
	;; [unrolled: 1-line block ×4, first 2 shown]
	v_lshlrev_b32_sdwa v76, v80, v169 dst_sel:DWORD dst_unused:UNUSED_PAD src0_sel:DWORD src1_sel:WORD_0
	ds_write_b128 v76, v[120:123] offset:144
	ds_write_b128 v76, v[72:75]
	ds_write_b128 v76, v[124:127] offset:288
.LBB0_15:
	s_or_b32 exec_lo, exec_lo, s2
	v_mul_lo_u16 v72, v108, 19
	s_waitcnt lgkmcnt(0)
	s_barrier
	buffer_gl0_inv
	s_mov_b32 s4, 0x37e14327
	v_lshrrev_b16 v154, 9, v72
	s_mov_b32 s16, 0xe976ee23
	s_mov_b32 s5, 0x3fe948f6
	;; [unrolled: 1-line block ×4, first 2 shown]
	v_mul_lo_u16 v72, v154, 27
	s_mov_b32 s2, 0x36b3c0b5
	s_mov_b32 s13, 0x3febfeb5
	;; [unrolled: 1-line block ×4, first 2 shown]
	v_sub_nc_u16 v72, v162, v72
	s_mov_b32 s22, 0xb247c609
	s_mov_b32 s15, 0xbff2aaaa
	;; [unrolled: 1-line block ×4, first 2 shown]
	v_and_b32_e32 v155, 0xff, v72
	s_mov_b32 s19, 0x3fe77f67
	s_mov_b32 s21, 0xbfe77f67
	;; [unrolled: 1-line block ×4, first 2 shown]
	v_mad_u64_u32 v[84:85], null, 0x60, v155, s[0:1]
	s_mov_b32 s24, s22
	s_mov_b32 s26, 0x37c3f68c
	s_mov_b32 s27, 0x3fdc38aa
	v_mad_u64_u32 v[152:153], null, 0x60, v162, s[0:1]
	v_mov_b32_e32 v172, 0xbd
	s_clause 0x5
	global_load_dwordx4 v[76:79], v[84:85], off offset:384
	global_load_dwordx4 v[72:75], v[84:85], off offset:400
	;; [unrolled: 1-line block ×6, first 2 shown]
	ds_read_b128 v[96:99], v159 offset:3024
	ds_read_b128 v[100:103], v159 offset:6048
	;; [unrolled: 1-line block ×6, first 2 shown]
	s_waitcnt vmcnt(5) lgkmcnt(5)
	v_mul_f64 v[128:129], v[98:99], v[78:79]
	v_mul_f64 v[130:131], v[96:97], v[78:79]
	s_waitcnt vmcnt(4) lgkmcnt(4)
	v_mul_f64 v[132:133], v[102:103], v[74:75]
	v_mul_f64 v[134:135], v[100:101], v[74:75]
	;; [unrolled: 3-line block ×6, first 2 shown]
	v_fma_f64 v[96:97], v[96:97], v[76:77], -v[128:129]
	v_fma_f64 v[98:99], v[98:99], v[76:77], v[130:131]
	v_fma_f64 v[100:101], v[100:101], v[72:73], -v[132:133]
	v_fma_f64 v[102:103], v[102:103], v[72:73], v[134:135]
	;; [unrolled: 2-line block ×6, first 2 shown]
	v_add_f64 v[128:129], v[96:97], v[104:105]
	v_add_f64 v[130:131], v[98:99], v[106:107]
	;; [unrolled: 1-line block ×4, first 2 shown]
	v_add_f64 v[100:101], v[100:101], -v[108:109]
	v_add_f64 v[102:103], v[102:103], -v[110:111]
	v_add_f64 v[108:109], v[112:113], v[116:117]
	v_add_f64 v[110:111], v[114:115], v[118:119]
	v_add_f64 v[112:113], v[116:117], -v[112:113]
	v_add_f64 v[114:115], v[118:119], -v[114:115]
	;; [unrolled: 1-line block ×4, first 2 shown]
	ds_read_b128 v[96:99], v159
	s_waitcnt lgkmcnt(0)
	s_barrier
	buffer_gl0_inv
	v_add_f64 v[116:117], v[132:133], v[128:129]
	v_add_f64 v[118:119], v[134:135], v[130:131]
	v_add_f64 v[136:137], v[128:129], -v[108:109]
	v_add_f64 v[138:139], v[130:131], -v[110:111]
	;; [unrolled: 1-line block ×6, first 2 shown]
	v_add_f64 v[100:101], v[112:113], v[100:101]
	v_add_f64 v[102:103], v[114:115], v[102:103]
	v_add_f64 v[112:113], v[104:105], -v[112:113]
	v_add_f64 v[114:115], v[106:107], -v[114:115]
	;; [unrolled: 1-line block ×4, first 2 shown]
	v_add_f64 v[116:117], v[108:109], v[116:117]
	v_add_f64 v[118:119], v[110:111], v[118:119]
	v_add_f64 v[108:109], v[108:109], -v[132:133]
	v_add_f64 v[110:111], v[110:111], -v[134:135]
	v_mul_f64 v[136:137], v[136:137], s[4:5]
	v_mul_f64 v[138:139], v[138:139], s[4:5]
	;; [unrolled: 1-line block ×6, first 2 shown]
	v_add_f64 v[100:101], v[100:101], v[104:105]
	v_add_f64 v[102:103], v[102:103], v[106:107]
	;; [unrolled: 1-line block ×4, first 2 shown]
	v_mul_f64 v[132:133], v[108:109], s[2:3]
	v_mul_f64 v[134:135], v[110:111], s[2:3]
	v_fma_f64 v[104:105], v[108:109], s[2:3], v[136:137]
	v_fma_f64 v[106:107], v[110:111], s[2:3], v[138:139]
	;; [unrolled: 1-line block ×4, first 2 shown]
	v_fma_f64 v[112:113], v[112:113], s[24:25], -v[148:149]
	v_fma_f64 v[114:115], v[114:115], s[24:25], -v[150:151]
	;; [unrolled: 1-line block ×6, first 2 shown]
	v_fma_f64 v[116:117], v[116:117], s[14:15], v[96:97]
	v_fma_f64 v[118:119], v[118:119], s[14:15], v[98:99]
	v_fma_f64 v[128:129], v[128:129], s[18:19], -v[132:133]
	v_fma_f64 v[130:131], v[130:131], s[18:19], -v[134:135]
	v_fma_f64 v[132:133], v[100:101], s[26:27], v[108:109]
	v_fma_f64 v[134:135], v[102:103], s[26:27], v[110:111]
	;; [unrolled: 1-line block ×6, first 2 shown]
	v_add_f64 v[148:149], v[104:105], v[116:117]
	v_add_f64 v[150:151], v[106:107], v[118:119]
	;; [unrolled: 1-line block ×7, first 2 shown]
	v_add_f64 v[102:103], v[150:151], -v[132:133]
	v_add_f64 v[104:105], v[146:147], v[136:137]
	v_add_f64 v[106:107], v[138:139], -v[144:145]
	v_add_f64 v[108:109], v[112:113], -v[142:143]
	v_add_f64 v[110:111], v[140:141], v[114:115]
	v_add_f64 v[112:113], v[142:143], v[112:113]
	v_add_f64 v[114:115], v[114:115], -v[140:141]
	v_add_f64 v[116:117], v[136:137], -v[146:147]
	v_add_f64 v[118:119], v[144:145], v[138:139]
	v_add_f64 v[128:129], v[148:149], -v[134:135]
	v_add_f64 v[130:131], v[132:133], v[150:151]
	v_add_co_u32 v132, s0, 0xba0, v152
	v_mul_u32_u24_sdwa v136, v154, v172 dst_sel:DWORD dst_unused:UNUSED_PAD src0_sel:WORD_0 src1_sel:DWORD
	v_add_co_ci_u32_e64 v133, s0, 0, v153, s0
	v_add_co_u32 v134, s0, 0x800, v152
	v_add_co_ci_u32_e64 v135, s0, 0, v153, s0
	v_add_lshl_u32 v172, v136, v155, 4
	v_add_co_u32 v136, s0, 0xbe0, v152
	v_add_co_ci_u32_e64 v137, s0, 0, v153, s0
	ds_write_b128 v172, v[96:99]
	ds_write_b128 v172, v[100:103] offset:432
	ds_write_b128 v172, v[104:107] offset:864
	;; [unrolled: 1-line block ×6, first 2 shown]
	s_waitcnt lgkmcnt(0)
	s_barrier
	buffer_gl0_inv
	s_clause 0x5
	global_load_dwordx4 v[100:103], v[134:135], off offset:928
	global_load_dwordx4 v[96:99], v[132:133], off offset:16
	;; [unrolled: 1-line block ×6, first 2 shown]
	ds_read_b128 v[128:131], v159 offset:3024
	ds_read_b128 v[132:135], v159 offset:6048
	;; [unrolled: 1-line block ×6, first 2 shown]
	s_waitcnt vmcnt(5) lgkmcnt(5)
	v_mul_f64 v[152:153], v[130:131], v[102:103]
	v_mul_f64 v[154:155], v[128:129], v[102:103]
	s_waitcnt vmcnt(4) lgkmcnt(4)
	v_mul_f64 v[173:174], v[134:135], v[98:99]
	v_mul_f64 v[175:176], v[132:133], v[98:99]
	s_waitcnt vmcnt(3) lgkmcnt(3)
	v_mul_f64 v[177:178], v[138:139], v[118:119]
	v_mul_f64 v[179:180], v[136:137], v[118:119]
	s_waitcnt vmcnt(2) lgkmcnt(2)
	v_mul_f64 v[181:182], v[142:143], v[114:115]
	v_mul_f64 v[183:184], v[140:141], v[114:115]
	s_waitcnt vmcnt(1) lgkmcnt(1)
	v_mul_f64 v[185:186], v[146:147], v[110:111]
	v_mul_f64 v[187:188], v[144:145], v[110:111]
	s_waitcnt vmcnt(0) lgkmcnt(0)
	v_mul_f64 v[189:190], v[150:151], v[106:107]
	v_mul_f64 v[191:192], v[148:149], v[106:107]
	v_fma_f64 v[128:129], v[128:129], v[100:101], -v[152:153]
	v_fma_f64 v[130:131], v[130:131], v[100:101], v[154:155]
	v_fma_f64 v[132:133], v[132:133], v[96:97], -v[173:174]
	v_fma_f64 v[134:135], v[134:135], v[96:97], v[175:176]
	v_fma_f64 v[136:137], v[136:137], v[116:117], -v[177:178]
	v_fma_f64 v[138:139], v[138:139], v[116:117], v[179:180]
	v_fma_f64 v[140:141], v[140:141], v[112:113], -v[181:182]
	v_fma_f64 v[142:143], v[142:143], v[112:113], v[183:184]
	v_fma_f64 v[144:145], v[144:145], v[108:109], -v[185:186]
	v_fma_f64 v[146:147], v[146:147], v[108:109], v[187:188]
	v_fma_f64 v[148:149], v[148:149], v[104:105], -v[189:190]
	v_fma_f64 v[150:151], v[150:151], v[104:105], v[191:192]
	v_add_f64 v[152:153], v[128:129], v[136:137]
	v_add_f64 v[154:155], v[130:131], v[138:139]
	;; [unrolled: 1-line block ×4, first 2 shown]
	v_add_f64 v[132:133], v[132:133], -v[140:141]
	v_add_f64 v[134:135], v[134:135], -v[142:143]
	v_add_f64 v[140:141], v[144:145], v[148:149]
	v_add_f64 v[142:143], v[146:147], v[150:151]
	v_add_f64 v[144:145], v[148:149], -v[144:145]
	v_add_f64 v[146:147], v[150:151], -v[146:147]
	v_add_f64 v[136:137], v[128:129], -v[136:137]
	v_add_f64 v[138:139], v[130:131], -v[138:139]
	v_add_f64 v[128:129], v[173:174], v[152:153]
	v_add_f64 v[130:131], v[175:176], v[154:155]
	v_add_f64 v[148:149], v[152:153], -v[140:141]
	v_add_f64 v[150:151], v[154:155], -v[142:143]
	;; [unrolled: 1-line block ×6, first 2 shown]
	v_add_f64 v[189:190], v[144:145], v[132:133]
	v_add_f64 v[191:192], v[146:147], v[134:135]
	v_add_f64 v[144:145], v[136:137], -v[144:145]
	v_add_f64 v[146:147], v[138:139], -v[146:147]
	v_add_f64 v[185:186], v[140:141], v[128:129]
	v_add_f64 v[187:188], v[142:143], v[130:131]
	ds_read_b128 v[128:131], v159
	v_add_f64 v[140:141], v[140:141], -v[173:174]
	v_add_f64 v[142:143], v[142:143], -v[175:176]
	v_mul_f64 v[148:149], v[148:149], s[4:5]
	v_mul_f64 v[150:151], v[150:151], s[4:5]
	;; [unrolled: 1-line block ×6, first 2 shown]
	v_add_f64 v[136:137], v[189:190], v[136:137]
	v_add_f64 v[138:139], v[191:192], v[138:139]
	s_waitcnt lgkmcnt(0)
	v_add_f64 v[132:133], v[128:129], v[185:186]
	v_add_f64 v[134:135], v[130:131], v[187:188]
	v_add_f64 v[128:129], v[173:174], -v[152:153]
	v_add_f64 v[130:131], v[175:176], -v[154:155]
	v_mul_f64 v[152:153], v[140:141], s[2:3]
	v_mul_f64 v[154:155], v[142:143], s[2:3]
	v_fma_f64 v[140:141], v[140:141], s[2:3], v[148:149]
	v_fma_f64 v[142:143], v[142:143], s[2:3], v[150:151]
	;; [unrolled: 1-line block ×4, first 2 shown]
	v_fma_f64 v[177:178], v[181:182], s[12:13], -v[177:178]
	v_fma_f64 v[179:180], v[183:184], s[12:13], -v[179:180]
	;; [unrolled: 1-line block ×4, first 2 shown]
	v_fma_f64 v[181:182], v[185:186], s[14:15], v[132:133]
	v_fma_f64 v[183:184], v[187:188], s[14:15], v[134:135]
	v_fma_f64 v[148:149], v[128:129], s[20:21], -v[148:149]
	v_fma_f64 v[150:151], v[130:131], s[20:21], -v[150:151]
	;; [unrolled: 1-line block ×4, first 2 shown]
	v_fma_f64 v[173:174], v[136:137], s[26:27], v[173:174]
	v_fma_f64 v[175:176], v[138:139], s[26:27], v[175:176]
	;; [unrolled: 1-line block ×6, first 2 shown]
	v_add_f64 v[185:186], v[140:141], v[181:182]
	v_add_f64 v[187:188], v[142:143], v[183:184]
	;; [unrolled: 1-line block ×6, first 2 shown]
	v_add_co_u32 v181, s0, 0x5000, v160
	v_add_co_ci_u32_e64 v182, s0, 0, v161, s0
	v_add_f64 v[136:137], v[175:176], v[185:186]
	v_add_f64 v[138:139], v[187:188], -v[173:174]
	v_add_f64 v[140:141], v[179:180], v[189:190]
	v_add_f64 v[142:143], v[191:192], -v[177:178]
	v_add_f64 v[144:145], v[128:129], -v[154:155]
	v_add_f64 v[146:147], v[152:153], v[130:131]
	v_add_f64 v[148:149], v[154:155], v[128:129]
	v_add_f64 v[150:151], v[130:131], -v[152:153]
	v_add_f64 v[152:153], v[189:190], -v[179:180]
	v_add_f64 v[154:155], v[177:178], v[191:192]
	v_add_f64 v[128:129], v[185:186], -v[175:176]
	v_add_f64 v[130:131], v[173:174], v[187:188]
	v_add_co_u32 v173, s0, 0x6800, v160
	v_add_co_ci_u32_e64 v174, s0, 0, v161, s0
	v_add_co_u32 v175, s0, 0x8800, v160
	v_add_co_ci_u32_e64 v176, s0, 0, v161, s0
	;; [unrolled: 2-line block ×4, first 2 shown]
	ds_write_b128 v159, v[132:135]
	ds_write_b128 v159, v[136:139] offset:3024
	ds_write_b128 v159, v[140:143] offset:6048
	;; [unrolled: 1-line block ×6, first 2 shown]
	v_add_co_u32 v152, s0, 0x9000, v160
	s_waitcnt lgkmcnt(0)
	s_barrier
	buffer_gl0_inv
	s_clause 0x2
	global_load_dwordx4 v[132:135], v[181:182], off offset:688
	global_load_dwordx4 v[136:139], v[173:174], off offset:1600
	;; [unrolled: 1-line block ×3, first 2 shown]
	v_add_co_ci_u32_e64 v153, s0, 0, v161, s0
	s_clause 0x2
	global_load_dwordx4 v[144:147], v[177:178], off offset:1664
	global_load_dwordx4 v[148:151], v[179:180], off offset:528
	;; [unrolled: 1-line block ×3, first 2 shown]
	ds_read_b128 v[173:176], v159
	ds_read_b128 v[177:180], v159 offset:7056
	ds_read_b128 v[181:184], v159 offset:14112
	;; [unrolled: 1-line block ×5, first 2 shown]
	s_waitcnt vmcnt(5) lgkmcnt(5)
	v_mul_f64 v[197:198], v[175:176], v[134:135]
	v_mul_f64 v[134:135], v[173:174], v[134:135]
	s_waitcnt vmcnt(4) lgkmcnt(4)
	v_mul_f64 v[199:200], v[179:180], v[138:139]
	v_mul_f64 v[138:139], v[177:178], v[138:139]
	;; [unrolled: 3-line block ×6, first 2 shown]
	v_fma_f64 v[173:174], v[173:174], v[132:133], -v[197:198]
	v_fma_f64 v[175:176], v[175:176], v[132:133], v[134:135]
	v_fma_f64 v[132:133], v[177:178], v[136:137], -v[199:200]
	v_fma_f64 v[134:135], v[179:180], v[136:137], v[138:139]
	;; [unrolled: 2-line block ×6, first 2 shown]
	ds_write_b128 v159, v[173:176]
	ds_write_b128 v159, v[132:135] offset:7056
	ds_write_b128 v159, v[136:139] offset:14112
	;; [unrolled: 1-line block ×5, first 2 shown]
	s_and_saveexec_b32 s1, vcc_lo
	s_cbranch_execz .LBB0_17
; %bb.16:
	v_add_co_u32 v134, s0, 0x52b0, v160
	v_add_co_ci_u32_e64 v135, s0, 0, v161, s0
	v_add_co_u32 v132, s0, 0x1000, v134
	v_add_co_ci_u32_e64 v133, s0, 0, v135, s0
	;; [unrolled: 2-line block ×4, first 2 shown]
	s_clause 0x2
	global_load_dwordx4 v[132:135], v[132:133], off offset:1952
	global_load_dwordx4 v[136:139], v[136:137], off offset:816
	;; [unrolled: 1-line block ×3, first 2 shown]
	ds_read_b128 v[144:147], v159 offset:6048
	ds_read_b128 v[148:151], v159 offset:13104
	ds_read_b128 v[152:155], v159 offset:20160
	s_waitcnt vmcnt(2) lgkmcnt(2)
	v_mul_f64 v[173:174], v[146:147], v[134:135]
	v_mul_f64 v[134:135], v[144:145], v[134:135]
	s_waitcnt vmcnt(1) lgkmcnt(1)
	v_mul_f64 v[175:176], v[150:151], v[138:139]
	v_mul_f64 v[138:139], v[148:149], v[138:139]
	;; [unrolled: 3-line block ×3, first 2 shown]
	v_fma_f64 v[142:143], v[144:145], v[132:133], -v[173:174]
	v_fma_f64 v[144:145], v[146:147], v[132:133], v[134:135]
	v_fma_f64 v[132:133], v[148:149], v[136:137], -v[175:176]
	v_fma_f64 v[134:135], v[150:151], v[136:137], v[138:139]
	;; [unrolled: 2-line block ×3, first 2 shown]
	ds_write_b128 v159, v[142:145] offset:6048
	ds_write_b128 v159, v[132:135] offset:13104
	;; [unrolled: 1-line block ×3, first 2 shown]
.LBB0_17:
	s_or_b32 exec_lo, exec_lo, s1
	s_waitcnt lgkmcnt(0)
	s_barrier
	buffer_gl0_inv
	ds_read_b128 v[144:147], v159
	ds_read_b128 v[140:143], v159 offset:3024
	ds_read_b128 v[152:155], v159 offset:7056
	;; [unrolled: 1-line block ×5, first 2 shown]
	s_and_saveexec_b32 s0, vcc_lo
	s_cbranch_execz .LBB0_19
; %bb.18:
	ds_read_b128 v[128:131], v159 offset:6048
	ds_read_b128 v[120:123], v159 offset:13104
	;; [unrolled: 1-line block ×3, first 2 shown]
.LBB0_19:
	s_or_b32 exec_lo, exec_lo, s0
	s_waitcnt lgkmcnt(1)
	v_add_f64 v[173:174], v[152:153], v[136:137]
	s_waitcnt lgkmcnt(0)
	v_add_f64 v[177:178], v[148:149], v[132:133]
	v_add_f64 v[179:180], v[150:151], v[134:135]
	;; [unrolled: 1-line block ×6, first 2 shown]
	v_add_f64 v[187:188], v[154:155], -v[138:139]
	v_add_f64 v[154:155], v[146:147], v[154:155]
	v_add_f64 v[189:190], v[140:141], v[148:149]
	;; [unrolled: 1-line block ×5, first 2 shown]
	v_add_f64 v[197:198], v[120:121], -v[124:125]
	v_add_f64 v[152:153], v[152:153], -v[136:137]
	;; [unrolled: 1-line block ×3, first 2 shown]
	s_mov_b32 s0, 0xe8584caa
	s_mov_b32 s1, 0xbfebb67a
	;; [unrolled: 1-line block ×4, first 2 shown]
	s_barrier
	v_fma_f64 v[144:145], v[173:174], -0.5, v[144:145]
	v_fma_f64 v[173:174], v[177:178], -0.5, v[140:141]
	;; [unrolled: 1-line block ×3, first 2 shown]
	v_add_f64 v[179:180], v[122:123], -v[126:127]
	v_fma_f64 v[181:182], v[181:182], -0.5, v[128:129]
	v_fma_f64 v[183:184], v[183:184], -0.5, v[130:131]
	;; [unrolled: 1-line block ×3, first 2 shown]
	v_add_f64 v[175:176], v[148:149], -v[132:133]
	v_add_f64 v[128:129], v[185:186], v[136:137]
	v_add_f64 v[130:131], v[154:155], v[138:139]
	;; [unrolled: 1-line block ×6, first 2 shown]
	buffer_gl0_inv
	v_fma_f64 v[124:125], v[187:188], s[0:1], v[144:145]
	v_fma_f64 v[144:145], v[187:188], s[2:3], v[144:145]
	;; [unrolled: 1-line block ×12, first 2 shown]
	ds_write_b128 v165, v[128:131]
	ds_write_b128 v165, v[124:127] offset:16
	ds_write_b128 v165, v[144:147] offset:32
	ds_write_b128 v163, v[140:143]
	ds_write_b128 v163, v[148:151] offset:16
	ds_write_b128 v163, v[152:155] offset:32
	s_and_saveexec_b32 s0, vcc_lo
	s_cbranch_execz .LBB0_21
; %bb.20:
	v_lshlrev_b32_e32 v124, 4, v164
	ds_write_b128 v124, v[120:123]
	ds_write_b128 v124, v[132:135] offset:16
	ds_write_b128 v124, v[136:139] offset:32
.LBB0_21:
	s_or_b32 exec_lo, exec_lo, s0
	s_waitcnt lgkmcnt(0)
	s_barrier
	buffer_gl0_inv
	ds_read_b128 v[128:131], v159
	ds_read_b128 v[124:127], v159 offset:3024
	ds_read_b128 v[148:151], v159 offset:7056
	;; [unrolled: 1-line block ×5, first 2 shown]
	s_and_saveexec_b32 s0, vcc_lo
	s_cbranch_execz .LBB0_23
; %bb.22:
	ds_read_b128 v[120:123], v159 offset:6048
	ds_read_b128 v[132:135], v159 offset:13104
	;; [unrolled: 1-line block ×3, first 2 shown]
.LBB0_23:
	s_or_b32 exec_lo, exec_lo, s0
	s_waitcnt lgkmcnt(3)
	v_mul_f64 v[163:164], v[38:39], v[150:151]
	s_waitcnt lgkmcnt(1)
	v_mul_f64 v[173:174], v[34:35], v[154:155]
	v_mul_f64 v[38:39], v[38:39], v[148:149]
	;; [unrolled: 1-line block ×4, first 2 shown]
	s_waitcnt lgkmcnt(0)
	v_mul_f64 v[177:178], v[26:27], v[146:147]
	v_mul_f64 v[30:31], v[30:31], v[140:141]
	;; [unrolled: 1-line block ×7, first 2 shown]
	s_mov_b32 s0, 0xe8584caa
	s_mov_b32 s1, 0xbfebb67a
	;; [unrolled: 1-line block ×3, first 2 shown]
	s_barrier
	buffer_gl0_inv
	v_fma_f64 v[148:149], v[36:37], v[148:149], v[163:164]
	v_fma_f64 v[152:153], v[32:33], v[152:153], v[173:174]
	v_fma_f64 v[36:37], v[36:37], v[150:151], -v[38:39]
	v_fma_f64 v[32:33], v[32:33], v[154:155], -v[34:35]
	v_fma_f64 v[34:35], v[28:29], v[140:141], v[175:176]
	v_fma_f64 v[140:141], v[24:25], v[144:145], v[177:178]
	v_fma_f64 v[28:29], v[28:29], v[142:143], -v[30:31]
	v_fma_f64 v[24:25], v[24:25], v[146:147], -v[26:27]
	;; [unrolled: 4-line block ×3, first 2 shown]
	v_add_f64 v[138:139], v[128:129], v[148:149]
	v_add_f64 v[48:49], v[148:149], v[152:153]
	;; [unrolled: 1-line block ×4, first 2 shown]
	v_add_f64 v[142:143], v[36:37], -v[32:33]
	v_add_f64 v[54:55], v[34:35], v[140:141]
	v_add_f64 v[146:147], v[124:125], v[34:35]
	;; [unrolled: 1-line block ×8, first 2 shown]
	v_add_f64 v[148:149], v[148:149], -v[152:153]
	v_add_f64 v[28:29], v[28:29], -v[24:25]
	;; [unrolled: 1-line block ×5, first 2 shown]
	v_add_f64 v[36:37], v[138:139], v[152:153]
	v_fma_f64 v[128:129], v[48:49], -0.5, v[128:129]
	v_add_f64 v[38:39], v[144:145], v[32:33]
	v_fma_f64 v[130:131], v[50:51], -0.5, v[130:131]
	v_fma_f64 v[173:174], v[54:55], -0.5, v[124:125]
	v_add_f64 v[48:49], v[146:147], v[140:141]
	v_fma_f64 v[132:133], v[132:133], -0.5, v[126:127]
	v_add_f64 v[50:51], v[150:151], v[24:25]
	;; [unrolled: 2-line block ×4, first 2 shown]
	v_fma_f64 v[52:53], v[142:143], s[0:1], v[128:129]
	v_fma_f64 v[120:121], v[142:143], s[2:3], v[128:129]
	v_fma_f64 v[54:55], v[148:149], s[2:3], v[130:131]
	v_fma_f64 v[122:123], v[148:149], s[0:1], v[130:131]
	v_fma_f64 v[124:125], v[28:29], s[0:1], v[173:174]
	v_fma_f64 v[128:129], v[28:29], s[2:3], v[173:174]
	v_fma_f64 v[126:127], v[34:35], s[2:3], v[132:133]
	v_fma_f64 v[130:131], v[34:35], s[0:1], v[132:133]
	v_fma_f64 v[28:29], v[175:176], s[0:1], v[134:135]
	v_fma_f64 v[32:33], v[175:176], s[2:3], v[134:135]
	v_fma_f64 v[30:31], v[177:178], s[2:3], v[136:137]
	v_fma_f64 v[34:35], v[177:178], s[0:1], v[136:137]
	ds_write_b128 v168, v[36:39]
	ds_write_b128 v168, v[52:55] offset:48
	ds_write_b128 v168, v[120:123] offset:96
	ds_write_b128 v167, v[48:51]
	ds_write_b128 v167, v[124:127] offset:48
	ds_write_b128 v167, v[128:131] offset:96
	s_and_saveexec_b32 s0, vcc_lo
	s_cbranch_execz .LBB0_25
; %bb.24:
	v_mov_b32_e32 v36, 4
	v_lshlrev_b32_sdwa v36, v36, v166 dst_sel:DWORD dst_unused:UNUSED_PAD src0_sel:DWORD src1_sel:WORD_0
	ds_write_b128 v36, v[24:27]
	ds_write_b128 v36, v[28:31] offset:48
	ds_write_b128 v36, v[32:35] offset:96
.LBB0_25:
	s_or_b32 exec_lo, exec_lo, s0
	s_waitcnt lgkmcnt(0)
	s_barrier
	buffer_gl0_inv
	ds_read_b128 v[48:51], v159
	ds_read_b128 v[36:39], v159 offset:3024
	ds_read_b128 v[124:127], v159 offset:7056
	;; [unrolled: 1-line block ×5, first 2 shown]
	s_and_saveexec_b32 s0, vcc_lo
	s_cbranch_execz .LBB0_27
; %bb.26:
	ds_read_b128 v[24:27], v159 offset:6048
	ds_read_b128 v[28:31], v159 offset:13104
	;; [unrolled: 1-line block ×3, first 2 shown]
.LBB0_27:
	s_or_b32 exec_lo, exec_lo, s0
	s_waitcnt lgkmcnt(3)
	v_mul_f64 v[132:133], v[62:63], v[126:127]
	s_waitcnt lgkmcnt(1)
	v_mul_f64 v[134:135], v[58:59], v[130:131]
	v_mul_f64 v[62:63], v[62:63], v[124:125]
	;; [unrolled: 1-line block ×4, first 2 shown]
	s_waitcnt lgkmcnt(0)
	v_mul_f64 v[138:139], v[66:67], v[122:123]
	v_mul_f64 v[70:71], v[70:71], v[52:53]
	;; [unrolled: 1-line block ×3, first 2 shown]
	s_mov_b32 s0, 0xe8584caa
	s_mov_b32 s1, 0xbfebb67a
	;; [unrolled: 1-line block ×3, first 2 shown]
	s_barrier
	buffer_gl0_inv
	v_fma_f64 v[124:125], v[60:61], v[124:125], v[132:133]
	v_fma_f64 v[128:129], v[56:57], v[128:129], v[134:135]
	v_fma_f64 v[60:61], v[60:61], v[126:127], -v[62:63]
	v_fma_f64 v[56:57], v[56:57], v[130:131], -v[58:59]
	v_fma_f64 v[52:53], v[68:69], v[52:53], v[136:137]
	v_fma_f64 v[58:59], v[64:65], v[120:121], v[138:139]
	v_fma_f64 v[54:55], v[68:69], v[54:55], -v[70:71]
	v_fma_f64 v[62:63], v[64:65], v[122:123], -v[66:67]
	v_add_f64 v[120:121], v[48:49], v[124:125]
	v_add_f64 v[64:65], v[124:125], v[128:129]
	v_add_f64 v[124:125], v[124:125], -v[128:129]
	v_add_f64 v[66:67], v[60:61], v[56:57]
	v_add_f64 v[122:123], v[60:61], -v[56:57]
	v_add_f64 v[68:69], v[52:53], v[58:59]
	v_add_f64 v[60:61], v[50:51], v[60:61]
	;; [unrolled: 1-line block ×5, first 2 shown]
	v_add_f64 v[132:133], v[54:55], -v[62:63]
	v_add_f64 v[134:135], v[52:53], -v[58:59]
	v_fma_f64 v[64:65], v[64:65], -0.5, v[48:49]
	v_fma_f64 v[66:67], v[66:67], -0.5, v[50:51]
	;; [unrolled: 1-line block ×3, first 2 shown]
	v_add_f64 v[36:37], v[120:121], v[128:129]
	v_fma_f64 v[70:71], v[70:71], -0.5, v[38:39]
	v_add_f64 v[38:39], v[60:61], v[56:57]
	v_add_f64 v[48:49], v[126:127], v[58:59]
	v_add_f64 v[50:51], v[130:131], v[62:63]
	v_fma_f64 v[52:53], v[122:123], s[0:1], v[64:65]
	v_fma_f64 v[56:57], v[122:123], s[2:3], v[64:65]
	;; [unrolled: 1-line block ×8, first 2 shown]
	ds_write_b128 v170, v[36:39]
	ds_write_b128 v170, v[52:55] offset:144
	ds_write_b128 v170, v[56:59] offset:288
	ds_write_b128 v171, v[48:51]
	ds_write_b128 v171, v[60:63] offset:144
	ds_write_b128 v171, v[64:67] offset:288
	s_and_saveexec_b32 s4, vcc_lo
	s_cbranch_execz .LBB0_29
; %bb.28:
	v_mul_f64 v[36:37], v[46:47], v[28:29]
	v_mul_f64 v[38:39], v[42:43], v[32:33]
	;; [unrolled: 1-line block ×4, first 2 shown]
	v_fma_f64 v[30:31], v[44:45], v[30:31], -v[36:37]
	v_fma_f64 v[34:35], v[40:41], v[34:35], -v[38:39]
	v_fma_f64 v[28:29], v[44:45], v[28:29], v[46:47]
	v_fma_f64 v[32:33], v[40:41], v[32:33], v[42:43]
	v_add_f64 v[42:43], v[26:27], v[30:31]
	v_add_f64 v[36:37], v[30:31], v[34:35]
	v_add_f64 v[44:45], v[30:31], -v[34:35]
	v_add_f64 v[38:39], v[28:29], v[32:33]
	v_add_f64 v[40:41], v[28:29], -v[32:33]
	v_add_f64 v[28:29], v[24:25], v[28:29]
	v_fma_f64 v[36:37], v[36:37], -0.5, v[26:27]
	v_add_f64 v[26:27], v[42:43], v[34:35]
	v_fma_f64 v[38:39], v[38:39], -0.5, v[24:25]
	v_add_f64 v[24:25], v[28:29], v[32:33]
	v_fma_f64 v[34:35], v[40:41], s[2:3], v[36:37]
	v_fma_f64 v[30:31], v[40:41], s[0:1], v[36:37]
	;; [unrolled: 1-line block ×4, first 2 shown]
	v_mov_b32_e32 v36, 4
	v_lshlrev_b32_sdwa v36, v36, v169 dst_sel:DWORD dst_unused:UNUSED_PAD src0_sel:DWORD src1_sel:WORD_0
	ds_write_b128 v36, v[24:27]
	ds_write_b128 v36, v[32:35] offset:144
	ds_write_b128 v36, v[28:31] offset:288
.LBB0_29:
	s_or_b32 exec_lo, exec_lo, s4
	s_waitcnt lgkmcnt(0)
	s_barrier
	buffer_gl0_inv
	ds_read_b128 v[24:27], v159 offset:3024
	ds_read_b128 v[28:31], v159 offset:6048
	;; [unrolled: 1-line block ×6, first 2 shown]
	s_mov_b32 s2, 0x37e14327
	s_mov_b32 s14, 0xe976ee23
	;; [unrolled: 1-line block ×14, first 2 shown]
	s_waitcnt lgkmcnt(5)
	v_mul_f64 v[48:49], v[78:79], v[26:27]
	v_mul_f64 v[50:51], v[78:79], v[24:25]
	s_waitcnt lgkmcnt(4)
	v_mul_f64 v[52:53], v[74:75], v[30:31]
	v_mul_f64 v[54:55], v[74:75], v[28:29]
	;; [unrolled: 3-line block ×6, first 2 shown]
	s_mov_b32 s19, 0xbfe77f67
	s_mov_b32 s23, 0x3fd5d0dc
	;; [unrolled: 1-line block ×6, first 2 shown]
	v_fma_f64 v[24:25], v[76:77], v[24:25], v[48:49]
	v_fma_f64 v[26:27], v[76:77], v[26:27], -v[50:51]
	v_fma_f64 v[28:29], v[72:73], v[28:29], v[52:53]
	v_fma_f64 v[30:31], v[72:73], v[30:31], -v[54:55]
	;; [unrolled: 2-line block ×6, first 2 shown]
	v_add_f64 v[48:49], v[24:25], v[32:33]
	v_add_f64 v[50:51], v[26:27], v[34:35]
	;; [unrolled: 1-line block ×4, first 2 shown]
	v_add_f64 v[28:29], v[28:29], -v[36:37]
	v_add_f64 v[30:31], v[30:31], -v[38:39]
	v_add_f64 v[36:37], v[40:41], v[44:45]
	v_add_f64 v[38:39], v[42:43], v[46:47]
	v_add_f64 v[40:41], v[44:45], -v[40:41]
	v_add_f64 v[42:43], v[46:47], -v[42:43]
	;; [unrolled: 1-line block ×4, first 2 shown]
	ds_read_b128 v[24:27], v159
	s_waitcnt lgkmcnt(0)
	s_barrier
	buffer_gl0_inv
	v_add_f64 v[44:45], v[52:53], v[48:49]
	v_add_f64 v[46:47], v[54:55], v[50:51]
	v_add_f64 v[56:57], v[48:49], -v[36:37]
	v_add_f64 v[58:59], v[50:51], -v[38:39]
	;; [unrolled: 1-line block ×6, first 2 shown]
	v_add_f64 v[28:29], v[40:41], v[28:29]
	v_add_f64 v[30:31], v[42:43], v[30:31]
	v_add_f64 v[40:41], v[32:33], -v[40:41]
	v_add_f64 v[42:43], v[34:35], -v[42:43]
	;; [unrolled: 1-line block ×4, first 2 shown]
	v_add_f64 v[44:45], v[36:37], v[44:45]
	v_add_f64 v[46:47], v[38:39], v[46:47]
	v_add_f64 v[36:37], v[36:37], -v[52:53]
	v_add_f64 v[38:39], v[38:39], -v[54:55]
	v_mul_f64 v[56:57], v[56:57], s[2:3]
	v_mul_f64 v[58:59], v[58:59], s[2:3]
	;; [unrolled: 1-line block ×6, first 2 shown]
	v_add_f64 v[28:29], v[28:29], v[32:33]
	v_add_f64 v[30:31], v[30:31], v[34:35]
	;; [unrolled: 1-line block ×4, first 2 shown]
	v_mul_f64 v[52:53], v[36:37], s[0:1]
	v_mul_f64 v[54:55], v[38:39], s[0:1]
	v_fma_f64 v[32:33], v[36:37], s[0:1], v[56:57]
	v_fma_f64 v[34:35], v[38:39], s[0:1], v[58:59]
	;; [unrolled: 1-line block ×4, first 2 shown]
	v_fma_f64 v[40:41], v[40:41], s[22:23], -v[68:69]
	v_fma_f64 v[42:43], v[42:43], s[22:23], -v[70:71]
	;; [unrolled: 1-line block ×6, first 2 shown]
	v_fma_f64 v[44:45], v[44:45], s[12:13], v[24:25]
	v_fma_f64 v[46:47], v[46:47], s[12:13], v[26:27]
	v_fma_f64 v[48:49], v[48:49], s[16:17], -v[52:53]
	v_fma_f64 v[50:51], v[50:51], s[16:17], -v[54:55]
	v_fma_f64 v[52:53], v[28:29], s[24:25], v[36:37]
	v_fma_f64 v[54:55], v[30:31], s[24:25], v[38:39]
	;; [unrolled: 1-line block ×6, first 2 shown]
	v_add_f64 v[68:69], v[32:33], v[44:45]
	v_add_f64 v[70:71], v[34:35], v[46:47]
	;; [unrolled: 1-line block ×7, first 2 shown]
	v_add_f64 v[30:31], v[70:71], -v[52:53]
	v_add_f64 v[32:33], v[66:67], v[56:57]
	v_add_f64 v[34:35], v[58:59], -v[64:65]
	v_add_f64 v[36:37], v[40:41], -v[62:63]
	v_add_f64 v[38:39], v[60:61], v[42:43]
	v_add_f64 v[40:41], v[62:63], v[40:41]
	v_add_f64 v[42:43], v[42:43], -v[60:61]
	v_add_f64 v[44:45], v[56:57], -v[66:67]
	v_add_f64 v[46:47], v[64:65], v[58:59]
	v_add_f64 v[48:49], v[68:69], -v[54:55]
	v_add_f64 v[50:51], v[52:53], v[70:71]
	ds_write_b128 v172, v[24:27]
	ds_write_b128 v172, v[28:31] offset:432
	ds_write_b128 v172, v[32:35] offset:864
	;; [unrolled: 1-line block ×6, first 2 shown]
	s_waitcnt lgkmcnt(0)
	s_barrier
	buffer_gl0_inv
	ds_read_b128 v[24:27], v159 offset:3024
	ds_read_b128 v[28:31], v159 offset:6048
	;; [unrolled: 1-line block ×6, first 2 shown]
	s_waitcnt lgkmcnt(5)
	v_mul_f64 v[48:49], v[102:103], v[26:27]
	v_mul_f64 v[50:51], v[102:103], v[24:25]
	s_waitcnt lgkmcnt(4)
	v_mul_f64 v[52:53], v[98:99], v[30:31]
	v_mul_f64 v[54:55], v[98:99], v[28:29]
	;; [unrolled: 3-line block ×6, first 2 shown]
	v_fma_f64 v[24:25], v[100:101], v[24:25], v[48:49]
	v_fma_f64 v[26:27], v[100:101], v[26:27], -v[50:51]
	v_fma_f64 v[28:29], v[96:97], v[28:29], v[52:53]
	v_fma_f64 v[30:31], v[96:97], v[30:31], -v[54:55]
	;; [unrolled: 2-line block ×6, first 2 shown]
	v_add_f64 v[48:49], v[24:25], v[32:33]
	v_add_f64 v[50:51], v[26:27], v[34:35]
	;; [unrolled: 1-line block ×4, first 2 shown]
	v_add_f64 v[28:29], v[28:29], -v[36:37]
	v_add_f64 v[30:31], v[30:31], -v[38:39]
	v_add_f64 v[36:37], v[40:41], v[44:45]
	v_add_f64 v[38:39], v[42:43], v[46:47]
	v_add_f64 v[40:41], v[44:45], -v[40:41]
	v_add_f64 v[42:43], v[46:47], -v[42:43]
	;; [unrolled: 1-line block ×4, first 2 shown]
	v_add_f64 v[24:25], v[52:53], v[48:49]
	v_add_f64 v[26:27], v[54:55], v[50:51]
	v_add_f64 v[44:45], v[48:49], -v[36:37]
	v_add_f64 v[46:47], v[50:51], -v[38:39]
	;; [unrolled: 1-line block ×6, first 2 shown]
	v_add_f64 v[28:29], v[40:41], v[28:29]
	v_add_f64 v[30:31], v[42:43], v[30:31]
	v_add_f64 v[40:41], v[32:33], -v[40:41]
	v_add_f64 v[42:43], v[34:35], -v[42:43]
	;; [unrolled: 1-line block ×4, first 2 shown]
	v_add_f64 v[64:65], v[36:37], v[24:25]
	v_add_f64 v[66:67], v[38:39], v[26:27]
	ds_read_b128 v[24:27], v159
	v_add_f64 v[36:37], v[36:37], -v[52:53]
	v_add_f64 v[38:39], v[38:39], -v[54:55]
	v_mul_f64 v[44:45], v[44:45], s[2:3]
	v_mul_f64 v[46:47], v[46:47], s[2:3]
	;; [unrolled: 1-line block ×6, first 2 shown]
	v_add_f64 v[28:29], v[28:29], v[32:33]
	v_add_f64 v[30:31], v[30:31], v[34:35]
	s_mov_b32 s2, 0x7a4ab0dc
	s_mov_b32 s3, 0x3f48c498
	s_waitcnt lgkmcnt(0)
	v_add_f64 v[24:25], v[24:25], v[64:65]
	v_add_f64 v[26:27], v[26:27], v[66:67]
	v_mul_f64 v[52:53], v[36:37], s[0:1]
	v_mul_f64 v[54:55], v[38:39], s[0:1]
	v_fma_f64 v[32:33], v[36:37], s[0:1], v[44:45]
	v_fma_f64 v[34:35], v[38:39], s[0:1], v[46:47]
	;; [unrolled: 1-line block ×4, first 2 shown]
	v_fma_f64 v[56:57], v[60:61], s[4:5], -v[56:57]
	v_fma_f64 v[58:59], v[62:63], s[4:5], -v[58:59]
	;; [unrolled: 1-line block ×6, first 2 shown]
	s_mul_i32 s0, s9, 0x1b9
	s_mul_hi_u32 s1, s8, 0x1b9
	s_mul_i32 s4, s8, 0x1b9
	s_add_i32 s5, s1, s0
	s_lshl_b64 s[4:5], s[4:5], 4
	v_fma_f64 v[60:61], v[64:65], s[12:13], v[24:25]
	v_fma_f64 v[62:63], v[66:67], s[12:13], v[26:27]
	s_mul_hi_u32 s12, s8, 0xfffffd4b
	v_fma_f64 v[48:49], v[48:49], s[16:17], -v[52:53]
	v_fma_f64 v[50:51], v[50:51], s[16:17], -v[54:55]
	s_sub_i32 s1, s12, s8
	v_fma_f64 v[52:53], v[28:29], s[24:25], v[36:37]
	v_fma_f64 v[54:55], v[30:31], s[24:25], v[38:39]
	;; [unrolled: 1-line block ×6, first 2 shown]
	v_add_f64 v[68:69], v[32:33], v[60:61]
	v_add_f64 v[70:71], v[34:35], v[62:63]
	;; [unrolled: 1-line block ×7, first 2 shown]
	v_add_f64 v[30:31], v[70:71], -v[52:53]
	v_add_f64 v[32:33], v[66:67], v[44:45]
	v_add_f64 v[34:35], v[46:47], -v[64:65]
	v_add_f64 v[36:37], v[40:41], -v[58:59]
	v_add_f64 v[38:39], v[56:57], v[42:43]
	v_add_f64 v[40:41], v[58:59], v[40:41]
	v_add_f64 v[42:43], v[42:43], -v[56:57]
	v_add_f64 v[44:45], v[44:45], -v[66:67]
	v_add_f64 v[46:47], v[64:65], v[46:47]
	v_add_f64 v[48:49], v[68:69], -v[54:55]
	v_add_f64 v[50:51], v[52:53], v[70:71]
	v_mad_u64_u32 v[52:53], null, s10, v158, 0
	ds_write_b128 v159, v[24:27]
	ds_write_b128 v159, v[28:31] offset:3024
	ds_write_b128 v159, v[32:35] offset:6048
	ds_write_b128 v159, v[36:39] offset:9072
	ds_write_b128 v159, v[40:43] offset:12096
	ds_write_b128 v159, v[44:47] offset:15120
	ds_write_b128 v159, v[48:51] offset:18144
	s_waitcnt lgkmcnt(0)
	s_barrier
	buffer_gl0_inv
	ds_read_b128 v[24:27], v159
	ds_read_b128 v[28:31], v159 offset:7056
	ds_read_b128 v[32:35], v159 offset:14112
	;; [unrolled: 1-line block ×5, first 2 shown]
	v_mov_b32_e32 v50, v53
	v_mad_u64_u32 v[48:49], null, s8, v162, 0
	s_mul_i32 s10, s8, 0xfffffd4b
	v_mad_u64_u32 v[50:51], null, s11, v158, v[50:51]
	s_mul_i32 s11, s9, 0xfffffd4b
	s_add_i32 s11, s1, s11
	v_mad_u64_u32 v[54:55], null, s9, v162, v[49:50]
	v_mov_b32_e32 v53, v50
	s_waitcnt lgkmcnt(5)
	v_mul_f64 v[50:51], v[2:3], v[26:27]
	v_mul_f64 v[2:3], v[2:3], v[24:25]
	s_waitcnt lgkmcnt(4)
	v_mul_f64 v[55:56], v[10:11], v[30:31]
	v_mul_f64 v[10:11], v[10:11], v[28:29]
	;; [unrolled: 3-line block ×6, first 2 shown]
	v_mov_b32_e32 v49, v54
	v_lshlrev_b64 v[52:53], 4, v[52:53]
	v_lshlrev_b64 v[48:49], 4, v[48:49]
	v_add_co_u32 v52, s0, s6, v52
	v_add_co_ci_u32_e64 v53, s0, s7, v53, s0
	v_fma_f64 v[24:25], v[0:1], v[24:25], v[50:51]
	v_fma_f64 v[0:1], v[0:1], v[26:27], -v[2:3]
	v_fma_f64 v[26:27], v[8:9], v[28:29], v[55:56]
	v_fma_f64 v[8:9], v[8:9], v[30:31], -v[10:11]
	;; [unrolled: 2-line block ×6, first 2 shown]
	v_add_co_u32 v38, s0, v52, v48
	v_add_co_ci_u32_e64 v39, s0, v53, v49, s0
	s_lshl_b64 s[6:7], s[10:11], 4
	v_add_co_u32 v40, s0, v38, s4
	v_add_co_ci_u32_e64 v41, s0, s5, v39, s0
	v_mul_f64 v[2:3], v[24:25], s[2:3]
	v_mul_f64 v[4:5], v[0:1], s[2:3]
	;; [unrolled: 1-line block ×3, first 2 shown]
	v_add_co_u32 v26, s0, v40, s4
	v_mul_f64 v[8:9], v[8:9], s[2:3]
	v_mul_f64 v[10:11], v[10:11], s[2:3]
	;; [unrolled: 1-line block ×3, first 2 shown]
	v_add_co_ci_u32_e64 v27, s0, s5, v41, s0
	v_mul_f64 v[14:15], v[14:15], s[2:3]
	v_mul_f64 v[16:17], v[28:29], s[2:3]
	;; [unrolled: 1-line block ×6, first 2 shown]
	v_add_co_u32 v28, s0, v26, s6
	v_add_co_ci_u32_e64 v29, s0, s7, v27, s0
	v_add_co_u32 v30, s0, v28, s4
	v_add_co_ci_u32_e64 v31, s0, s5, v29, s0
	;; [unrolled: 2-line block ×3, first 2 shown]
	global_store_dwordx4 v[38:39], v[2:5], off
	global_store_dwordx4 v[40:41], v[6:9], off
	;; [unrolled: 1-line block ×6, first 2 shown]
	s_and_b32 exec_lo, exec_lo, vcc_lo
	s_cbranch_execz .LBB0_31
; %bb.30:
	v_add_co_u32 v2, vcc_lo, 0x1000, v160
	v_add_co_ci_u32_e32 v3, vcc_lo, 0, v161, vcc_lo
	v_add_co_u32 v10, vcc_lo, 0x4800, v160
	v_add_co_ci_u32_e32 v11, vcc_lo, 0, v161, vcc_lo
	s_clause 0x2
	global_load_dwordx4 v[2:5], v[2:3], off offset:1952
	global_load_dwordx4 v[6:9], v[156:157], off offset:816
	;; [unrolled: 1-line block ×3, first 2 shown]
	ds_read_b128 v[14:17], v159 offset:6048
	ds_read_b128 v[18:21], v159 offset:13104
	;; [unrolled: 1-line block ×3, first 2 shown]
	v_add_co_u32 v0, vcc_lo, v0, s6
	v_add_co_ci_u32_e32 v1, vcc_lo, s7, v1, vcc_lo
	s_waitcnt vmcnt(2) lgkmcnt(2)
	v_mul_f64 v[26:27], v[16:17], v[4:5]
	v_mul_f64 v[4:5], v[14:15], v[4:5]
	s_waitcnt vmcnt(1) lgkmcnt(1)
	v_mul_f64 v[28:29], v[20:21], v[8:9]
	v_mul_f64 v[8:9], v[18:19], v[8:9]
	;; [unrolled: 3-line block ×3, first 2 shown]
	v_fma_f64 v[14:15], v[14:15], v[2:3], v[26:27]
	v_fma_f64 v[4:5], v[2:3], v[16:17], -v[4:5]
	v_fma_f64 v[16:17], v[18:19], v[6:7], v[28:29]
	v_fma_f64 v[8:9], v[6:7], v[20:21], -v[8:9]
	;; [unrolled: 2-line block ×3, first 2 shown]
	v_mul_f64 v[2:3], v[14:15], s[2:3]
	v_mul_f64 v[4:5], v[4:5], s[2:3]
	;; [unrolled: 1-line block ×6, first 2 shown]
	v_add_co_u32 v14, vcc_lo, v0, s4
	v_add_co_ci_u32_e32 v15, vcc_lo, s5, v1, vcc_lo
	v_add_co_u32 v16, vcc_lo, v14, s4
	v_add_co_ci_u32_e32 v17, vcc_lo, s5, v15, vcc_lo
	global_store_dwordx4 v[0:1], v[2:5], off
	global_store_dwordx4 v[14:15], v[6:9], off
	;; [unrolled: 1-line block ×3, first 2 shown]
.LBB0_31:
	s_endpgm
	.section	.rodata,"a",@progbits
	.p2align	6, 0x0
	.amdhsa_kernel bluestein_single_fwd_len1323_dim1_dp_op_CI_CI
		.amdhsa_group_segment_fixed_size 21168
		.amdhsa_private_segment_fixed_size 0
		.amdhsa_kernarg_size 104
		.amdhsa_user_sgpr_count 6
		.amdhsa_user_sgpr_private_segment_buffer 1
		.amdhsa_user_sgpr_dispatch_ptr 0
		.amdhsa_user_sgpr_queue_ptr 0
		.amdhsa_user_sgpr_kernarg_segment_ptr 1
		.amdhsa_user_sgpr_dispatch_id 0
		.amdhsa_user_sgpr_flat_scratch_init 0
		.amdhsa_user_sgpr_private_segment_size 0
		.amdhsa_wavefront_size32 1
		.amdhsa_uses_dynamic_stack 0
		.amdhsa_system_sgpr_private_segment_wavefront_offset 0
		.amdhsa_system_sgpr_workgroup_id_x 1
		.amdhsa_system_sgpr_workgroup_id_y 0
		.amdhsa_system_sgpr_workgroup_id_z 0
		.amdhsa_system_sgpr_workgroup_info 0
		.amdhsa_system_vgpr_workitem_id 0
		.amdhsa_next_free_vgpr 209
		.amdhsa_next_free_sgpr 28
		.amdhsa_reserve_vcc 1
		.amdhsa_reserve_flat_scratch 0
		.amdhsa_float_round_mode_32 0
		.amdhsa_float_round_mode_16_64 0
		.amdhsa_float_denorm_mode_32 3
		.amdhsa_float_denorm_mode_16_64 3
		.amdhsa_dx10_clamp 1
		.amdhsa_ieee_mode 1
		.amdhsa_fp16_overflow 0
		.amdhsa_workgroup_processor_mode 1
		.amdhsa_memory_ordered 1
		.amdhsa_forward_progress 0
		.amdhsa_shared_vgpr_count 0
		.amdhsa_exception_fp_ieee_invalid_op 0
		.amdhsa_exception_fp_denorm_src 0
		.amdhsa_exception_fp_ieee_div_zero 0
		.amdhsa_exception_fp_ieee_overflow 0
		.amdhsa_exception_fp_ieee_underflow 0
		.amdhsa_exception_fp_ieee_inexact 0
		.amdhsa_exception_int_div_zero 0
	.end_amdhsa_kernel
	.text
.Lfunc_end0:
	.size	bluestein_single_fwd_len1323_dim1_dp_op_CI_CI, .Lfunc_end0-bluestein_single_fwd_len1323_dim1_dp_op_CI_CI
                                        ; -- End function
	.section	.AMDGPU.csdata,"",@progbits
; Kernel info:
; codeLenInByte = 12208
; NumSgprs: 30
; NumVgprs: 209
; ScratchSize: 0
; MemoryBound: 0
; FloatMode: 240
; IeeeMode: 1
; LDSByteSize: 21168 bytes/workgroup (compile time only)
; SGPRBlocks: 3
; VGPRBlocks: 26
; NumSGPRsForWavesPerEU: 30
; NumVGPRsForWavesPerEU: 209
; Occupancy: 4
; WaveLimiterHint : 1
; COMPUTE_PGM_RSRC2:SCRATCH_EN: 0
; COMPUTE_PGM_RSRC2:USER_SGPR: 6
; COMPUTE_PGM_RSRC2:TRAP_HANDLER: 0
; COMPUTE_PGM_RSRC2:TGID_X_EN: 1
; COMPUTE_PGM_RSRC2:TGID_Y_EN: 0
; COMPUTE_PGM_RSRC2:TGID_Z_EN: 0
; COMPUTE_PGM_RSRC2:TIDIG_COMP_CNT: 0
	.text
	.p2alignl 6, 3214868480
	.fill 48, 4, 3214868480
	.type	__hip_cuid_40678f765828d7d7,@object ; @__hip_cuid_40678f765828d7d7
	.section	.bss,"aw",@nobits
	.globl	__hip_cuid_40678f765828d7d7
__hip_cuid_40678f765828d7d7:
	.byte	0                               ; 0x0
	.size	__hip_cuid_40678f765828d7d7, 1

	.ident	"AMD clang version 19.0.0git (https://github.com/RadeonOpenCompute/llvm-project roc-6.4.0 25133 c7fe45cf4b819c5991fe208aaa96edf142730f1d)"
	.section	".note.GNU-stack","",@progbits
	.addrsig
	.addrsig_sym __hip_cuid_40678f765828d7d7
	.amdgpu_metadata
---
amdhsa.kernels:
  - .args:
      - .actual_access:  read_only
        .address_space:  global
        .offset:         0
        .size:           8
        .value_kind:     global_buffer
      - .actual_access:  read_only
        .address_space:  global
        .offset:         8
        .size:           8
        .value_kind:     global_buffer
      - .actual_access:  read_only
        .address_space:  global
        .offset:         16
        .size:           8
        .value_kind:     global_buffer
      - .actual_access:  read_only
        .address_space:  global
        .offset:         24
        .size:           8
        .value_kind:     global_buffer
      - .actual_access:  read_only
        .address_space:  global
        .offset:         32
        .size:           8
        .value_kind:     global_buffer
      - .offset:         40
        .size:           8
        .value_kind:     by_value
      - .address_space:  global
        .offset:         48
        .size:           8
        .value_kind:     global_buffer
      - .address_space:  global
        .offset:         56
        .size:           8
        .value_kind:     global_buffer
      - .address_space:  global
        .offset:         64
        .size:           8
        .value_kind:     global_buffer
      - .address_space:  global
        .offset:         72
        .size:           8
        .value_kind:     global_buffer
      - .offset:         80
        .size:           4
        .value_kind:     by_value
      - .address_space:  global
        .offset:         88
        .size:           8
        .value_kind:     global_buffer
      - .address_space:  global
        .offset:         96
        .size:           8
        .value_kind:     global_buffer
    .group_segment_fixed_size: 21168
    .kernarg_segment_align: 8
    .kernarg_segment_size: 104
    .language:       OpenCL C
    .language_version:
      - 2
      - 0
    .max_flat_workgroup_size: 189
    .name:           bluestein_single_fwd_len1323_dim1_dp_op_CI_CI
    .private_segment_fixed_size: 0
    .sgpr_count:     30
    .sgpr_spill_count: 0
    .symbol:         bluestein_single_fwd_len1323_dim1_dp_op_CI_CI.kd
    .uniform_work_group_size: 1
    .uses_dynamic_stack: false
    .vgpr_count:     209
    .vgpr_spill_count: 0
    .wavefront_size: 32
    .workgroup_processor_mode: 1
amdhsa.target:   amdgcn-amd-amdhsa--gfx1030
amdhsa.version:
  - 1
  - 2
...

	.end_amdgpu_metadata
